;; amdgpu-corpus repo=ROCm/rocFFT kind=compiled arch=gfx1201 opt=O3
	.text
	.amdgcn_target "amdgcn-amd-amdhsa--gfx1201"
	.amdhsa_code_object_version 6
	.protected	bluestein_single_back_len384_dim1_sp_op_CI_CI ; -- Begin function bluestein_single_back_len384_dim1_sp_op_CI_CI
	.globl	bluestein_single_back_len384_dim1_sp_op_CI_CI
	.p2align	8
	.type	bluestein_single_back_len384_dim1_sp_op_CI_CI,@function
bluestein_single_back_len384_dim1_sp_op_CI_CI: ; @bluestein_single_back_len384_dim1_sp_op_CI_CI
; %bb.0:
	s_load_b128 s[16:19], s[0:1], 0x28
	v_lshrrev_b32_e32 v1, 5, v0
	v_mov_b32_e32 v61, 0
	s_mov_b32 s2, exec_lo
	s_delay_alu instid0(VALU_DEP_2) | instskip(SKIP_1) | instid1(VALU_DEP_1)
	v_lshl_or_b32 v60, ttmp9, 2, v1
	s_wait_kmcnt 0x0
	v_cmpx_gt_u64_e64 s[16:17], v[60:61]
	s_cbranch_execz .LBB0_2
; %bb.1:
	s_clause 0x2
	s_load_b128 s[4:7], s[0:1], 0x18
	s_load_b128 s[8:11], s[0:1], 0x0
	s_load_b64 s[0:1], s[0:1], 0x38
	s_wait_kmcnt 0x0
	s_load_b128 s[12:15], s[4:5], 0x0
	s_wait_kmcnt 0x0
	v_mad_co_u64_u32 v[2:3], null, s14, v60, 0
	v_and_b32_e32 v79, 31, v0
	s_lshl_b64 s[2:3], s[12:13], 9
	s_mul_i32 s4, s13, 0xfffff700
	s_delay_alu instid0(SALU_CYCLE_1) | instskip(NEXT) | instid1(VALU_DEP_2)
	s_sub_co_i32 s4, s4, s12
	v_mov_b32_e32 v0, v3
	v_mad_co_u64_u32 v[4:5], null, s12, v79, 0
	v_mul_lo_u16 v28, v79, 43
	v_or_b32_e32 v30, 64, v79
	v_lshlrev_b32_e32 v84, 3, v79
	s_clause 0x1
	global_load_b64 v[36:37], v84, s[8:9]
	global_load_b64 v[38:39], v84, s[8:9] offset:512
	v_mov_b32_e32 v3, v5
	v_mad_co_u64_u32 v[5:6], null, s15, v60, v[0:1]
	s_clause 0x2
	global_load_b64 v[40:41], v84, s[8:9] offset:1024
	global_load_b64 v[42:43], v84, s[8:9] offset:1536
	;; [unrolled: 1-line block ×3, first 2 shown]
	v_mad_co_u64_u32 v[6:7], null, s13, v79, v[3:4]
	v_lshrrev_b16 v31, 8, v28
	v_mov_b32_e32 v3, v5
	v_mul_lo_u16 v33, v30, 43
	s_delay_alu instid0(VALU_DEP_4) | instskip(NEXT) | instid1(VALU_DEP_3)
	v_mov_b32_e32 v5, v6
	v_lshlrev_b64_e32 v[2:3], 3, v[2:3]
	s_delay_alu instid0(VALU_DEP_3) | instskip(SKIP_1) | instid1(VALU_DEP_4)
	v_lshrrev_b16 v35, 8, v33
	v_lshrrev_b16 v92, 10, v33
	v_lshlrev_b64_e32 v[4:5], 3, v[4:5]
	s_delay_alu instid0(VALU_DEP_4) | instskip(SKIP_2) | instid1(VALU_DEP_3)
	v_add_co_u32 v0, vcc_lo, s18, v2
	v_add_co_ci_u32_e32 v3, vcc_lo, s19, v3, vcc_lo
	v_mul_lo_u16 v62, v35, 6
	v_add_co_u32 v2, vcc_lo, v0, v4
	s_wait_alu 0xfffd
	s_delay_alu instid0(VALU_DEP_3) | instskip(NEXT) | instid1(VALU_DEP_2)
	v_add_co_ci_u32_e32 v3, vcc_lo, v3, v5, vcc_lo
	v_add_co_u32 v4, vcc_lo, v2, s2
	s_wait_alu 0xfffd
	s_delay_alu instid0(VALU_DEP_2)
	v_add_co_ci_u32_e32 v5, vcc_lo, s3, v3, vcc_lo
	global_load_b64 v[2:3], v[2:3], off
	v_add_co_u32 v6, vcc_lo, v4, s2
	s_wait_alu 0xfffd
	v_add_co_ci_u32_e32 v7, vcc_lo, s3, v5, vcc_lo
	global_load_b64 v[4:5], v[4:5], off
	v_add_co_u32 v8, vcc_lo, v6, s2
	s_wait_alu 0xfffd
	v_add_co_ci_u32_e32 v9, vcc_lo, s3, v7, vcc_lo
	s_clause 0x1
	global_load_b64 v[46:47], v84, s[8:9] offset:2560
	global_load_b64 v[48:49], v84, s[8:9] offset:768
	global_load_b64 v[6:7], v[6:7], off
	v_add_co_u32 v10, vcc_lo, v8, s2
	s_wait_alu 0xfffd
	v_add_co_ci_u32_e32 v11, vcc_lo, s3, v9, vcc_lo
	global_load_b64 v[8:9], v[8:9], off
	s_clause 0x1
	global_load_b64 v[50:51], v84, s[8:9] offset:256
	global_load_b64 v[52:53], v84, s[8:9] offset:1792
	v_add_co_u32 v12, vcc_lo, v10, s2
	s_wait_alu 0xfffd
	v_add_co_ci_u32_e32 v13, vcc_lo, s3, v11, vcc_lo
	global_load_b64 v[10:11], v[10:11], off
	global_load_b64 v[54:55], v84, s[8:9] offset:1280
	v_mad_co_u64_u32 v[14:15], null, 0xfffff700, s12, v[12:13]
	global_load_b64 v[16:17], v[12:13], off
	v_add_nc_u32_e32 v15, s4, v15
	v_add_co_u32 v12, vcc_lo, v14, s2
	s_wait_alu 0xfffd
	s_delay_alu instid0(VALU_DEP_2) | instskip(NEXT) | instid1(VALU_DEP_2)
	v_add_co_ci_u32_e32 v13, vcc_lo, s3, v15, vcc_lo
	v_add_co_u32 v18, vcc_lo, v12, s2
	global_load_b64 v[14:15], v[14:15], off
	s_wait_alu 0xfffd
	v_add_co_ci_u32_e32 v19, vcc_lo, s3, v13, vcc_lo
	global_load_b64 v[20:21], v[12:13], off
	v_add_co_u32 v12, vcc_lo, v18, s2
	s_wait_alu 0xfffd
	v_add_co_ci_u32_e32 v13, vcc_lo, s3, v19, vcc_lo
	global_load_b64 v[18:19], v[18:19], off
	v_add_co_u32 v22, vcc_lo, v12, s2
	;; [unrolled: 4-line block ×3, first 2 shown]
	s_wait_alu 0xfffd
	v_add_co_ci_u32_e32 v13, vcc_lo, s3, v23, vcc_lo
	s_clause 0x1
	global_load_b64 v[56:57], v84, s[8:9] offset:2816
	global_load_b64 v[58:59], v84, s[8:9] offset:2304
	global_load_b64 v[22:23], v[22:23], off
	global_load_b64 v[26:27], v[12:13], off
	v_mul_u32_u24_e32 v12, 0x180, v1
	v_or_b32_e32 v13, 32, v79
	v_mul_u32_u24_e32 v1, 6, v79
	s_load_b128 s[4:7], s[6:7], 0x0
	v_cmp_gt_u32_e32 vcc_lo, 24, v79
	v_or_b32_e32 v0, v12, v79
	v_lshl_or_b32 v82, v12, 3, v84
	v_add_lshl_u32 v86, v12, v1, 3
	v_mul_lo_u16 v1, v31, 6
	v_mul_lo_u16 v32, v13, 43
	v_lshlrev_b32_e32 v81, 3, v0
	v_mul_u32_u24_e32 v0, 6, v13
	v_add_nc_u32_e32 v80, 0x800, v82
	v_sub_nc_u16 v67, v79, v1
	v_lshrrev_b16 v34, 8, v32
	v_lshrrev_b16 v91, 10, v32
	v_add_lshl_u32 v85, v12, v0, 3
	s_delay_alu instid0(VALU_DEP_4) | instskip(NEXT) | instid1(VALU_DEP_4)
	v_mul_lo_u16 v63, v67, 24
	v_mul_lo_u16 v61, v34, 6
	s_wait_loadcnt 0x12
	v_mul_f32_e32 v0, v3, v37
	s_wait_loadcnt 0x11
	v_dual_mul_f32 v28, v5, v39 :: v_dual_mul_f32 v1, v2, v37
	s_delay_alu instid0(VALU_DEP_2) | instskip(SKIP_2) | instid1(VALU_DEP_3)
	v_dual_mul_f32 v29, v4, v39 :: v_dual_fmac_f32 v0, v2, v36
	s_wait_loadcnt 0xe
	v_mul_f32_e32 v2, v7, v41
	v_fmac_f32_e32 v28, v4, v38
	v_fma_f32 v1, v3, v36, -v1
	v_fma_f32 v29, v5, v38, -v29
	s_wait_loadcnt 0xd
	v_dual_mul_f32 v3, v6, v41 :: v_dual_mul_f32 v4, v9, v43
	ds_store_b64 v81, v[0:1]
	ds_store_b64 v81, v[28:29] offset:512
	v_dual_fmac_f32 v2, v6, v40 :: v_dual_mul_f32 v1, v8, v43
	v_fma_f32 v3, v7, v40, -v3
	s_wait_loadcnt 0xa
	v_dual_fmac_f32 v4, v8, v42 :: v_dual_mul_f32 v7, v10, v45
	v_mul_f32_e32 v0, v11, v45
	v_fma_f32 v5, v9, v42, -v1
	s_wait_loadcnt 0x8
	v_mul_f32_e32 v6, v17, v47
	v_mul_f32_e32 v8, v16, v47
	v_fma_f32 v1, v11, v44, -v7
	s_wait_loadcnt 0x7
	s_delay_alu instid0(VALU_DEP_3) | instskip(SKIP_1) | instid1(VALU_DEP_2)
	v_dual_fmac_f32 v6, v16, v46 :: v_dual_mul_f32 v9, v14, v51
	v_fmac_f32_e32 v0, v10, v44
	v_fma_f32 v9, v15, v50, -v9
	s_wait_loadcnt 0x0
	v_mul_f32_e32 v11, v26, v57
	v_fma_f32 v7, v17, v46, -v8
	v_mul_f32_e32 v8, v15, v51
	ds_store_b64 v82, v[2:3] offset:1024
	ds_store_b64 v82, v[4:5] offset:1536
	;; [unrolled: 1-line block ×4, first 2 shown]
	v_dual_mul_f32 v0, v21, v49 :: v_dual_mul_f32 v7, v22, v59
	v_dual_mul_f32 v1, v20, v49 :: v_dual_mul_f32 v2, v19, v55
	;; [unrolled: 1-line block ×4, first 2 shown]
	v_mul_f32_e32 v10, v27, v57
	v_fma_f32 v11, v27, v56, -v11
	v_sub_nc_u16 v27, v30, v62
	v_fmac_f32_e32 v8, v14, v50
	v_fmac_f32_e32 v0, v20, v48
	v_fma_f32 v1, v21, v48, -v1
	v_fmac_f32_e32 v2, v18, v54
	v_fma_f32 v3, v19, v54, -v3
	;; [unrolled: 2-line block ×4, first 2 shown]
	v_dual_fmac_f32 v10, v26, v56 :: v_dual_and_b32 v69, 0xff, v27
	ds_store_b64 v81, v[8:9] offset:256
	ds_store_b64 v81, v[0:1] offset:768
	ds_store_b64 v82, v[2:3] offset:1280
	ds_store_b64 v82, v[4:5] offset:1792
	ds_store_b64 v82, v[6:7] offset:2304
	ds_store_b64 v82, v[10:11] offset:2816
	global_wb scope:SCOPE_SE
	s_wait_dscnt 0x0
	s_wait_kmcnt 0x0
	s_barrier_signal -1
	s_barrier_wait -1
	global_inv scope:SCOPE_SE
	ds_load_2addr_b64 v[0:3], v81 offset1:32
	ds_load_2addr_b64 v[4:7], v82 offset0:128 offset1:160
	ds_load_2addr_b64 v[8:11], v80 offset1:32
	ds_load_2addr_b64 v[14:17], v81 offset0:64 offset1:96
	ds_load_2addr_b64 v[18:21], v82 offset0:192 offset1:224
	;; [unrolled: 1-line block ×3, first 2 shown]
	v_sub_nc_u16 v26, v13, v61
	v_and_b32_e32 v28, 0xf8, v63
	global_wb scope:SCOPE_SE
	s_wait_dscnt 0x0
	s_barrier_signal -1
	s_barrier_wait -1
	v_and_b32_e32 v68, 0xff, v26
	global_inv scope:SCOPE_SE
	v_add_f32_e32 v61, v0, v4
	v_dual_add_f32 v83, v17, v21 :: v_dual_add_f32 v62, v4, v8
	v_sub_f32_e32 v78, v21, v25
	v_add_f32_e32 v21, v21, v25
	v_dual_sub_f32 v63, v5, v9 :: v_dual_sub_f32 v4, v4, v8
	v_add_f32_e32 v75, v3, v7
	v_add_f32_e32 v71, v15, v19
	s_delay_alu instid0(VALU_DEP_4)
	v_dual_fmac_f32 v17, -0.5, v21 :: v_dual_add_f32 v72, v2, v6
	v_add_f32_e32 v64, v1, v5
	v_dual_add_f32 v5, v5, v9 :: v_dual_add_f32 v66, v18, v22
	v_fma_f32 v0, -0.5, v62, v0
	v_add_f32_e32 v65, v14, v18
	v_sub_f32_e32 v18, v18, v22
	s_delay_alu instid0(VALU_DEP_4)
	v_fma_f32 v1, -0.5, v5, v1
	v_sub_f32_e32 v74, v7, v11
	v_add_f32_e32 v7, v7, v11
	v_dual_add_f32 v77, v20, v24 :: v_dual_add_f32 v62, v75, v11
	v_add_f32_e32 v73, v6, v10
	v_add_co_u32 v26, s2, s10, v28
	s_delay_alu instid0(VALU_DEP_4)
	v_dual_fmac_f32 v3, -0.5, v7 :: v_dual_add_f32 v8, v61, v8
	v_fma_f32 v61, -0.5, v66, v14
	v_add_f32_e32 v76, v16, v20
	v_sub_f32_e32 v70, v19, v23
	v_add_f32_e32 v19, v19, v23
	v_fma_f32 v2, -0.5, v73, v2
	v_fma_f32 v16, -0.5, v77, v16
	v_add_f32_e32 v7, v76, v24
	s_wait_alu 0xf1ff
	v_add_co_ci_u32_e64 v27, null, s11, 0, s2
	v_fma_f32 v19, -0.5, v19, v15
	v_sub_f32_e32 v20, v20, v24
	v_add_f32_e32 v24, v83, v25
	v_add_f32_e32 v14, v71, v23
	v_fmamk_f32 v25, v63, 0x3f5db3d7, v0
	v_dual_fmac_f32 v0, 0xbf5db3d7, v63 :: v_dual_fmamk_f32 v63, v4, 0xbf5db3d7, v1
	v_add_f32_e32 v23, v72, v10
	v_add_f32_e32 v9, v64, v9
	v_sub_f32_e32 v21, v62, v24
	v_fmac_f32_e32 v1, 0x3f5db3d7, v4
	v_add_nc_u32_e32 v83, 0x800, v81
	v_mad_co_u64_u32 v[28:29], null, v68, 24, s[10:11]
	v_add_f32_e32 v5, v9, v14
	v_sub_f32_e32 v11, v9, v14
	v_dual_add_f32 v22, v65, v22 :: v_dual_add_f32 v15, v62, v24
	v_fmamk_f32 v65, v18, 0xbf5db3d7, v19
	v_fmac_f32_e32 v19, 0x3f5db3d7, v18
	v_fmamk_f32 v64, v70, 0x3f5db3d7, v61
	v_sub_f32_e32 v6, v6, v10
	v_fmac_f32_e32 v61, 0xbf5db3d7, v70
	s_delay_alu instid0(VALU_DEP_4) | instskip(NEXT) | instid1(VALU_DEP_4)
	v_dual_add_f32 v4, v8, v22 :: v_dual_mul_f32 v71, -0.5, v19
	v_mul_f32_e32 v62, 0xbf5db3d7, v64
	v_sub_f32_e32 v10, v8, v22
	s_add_nc_u64 s[2:3], s[8:9], 0xc00
	s_delay_alu instid0(VALU_DEP_3) | instskip(NEXT) | instid1(VALU_DEP_3)
	v_fmac_f32_e32 v71, 0xbf5db3d7, v61
	v_fmac_f32_e32 v62, 0.5, v65
	v_fmamk_f32 v8, v20, 0xbf5db3d7, v17
	v_fmac_f32_e32 v17, 0x3f5db3d7, v20
	v_fmamk_f32 v70, v6, 0xbf5db3d7, v3
	v_dual_fmac_f32 v3, 0x3f5db3d7, v6 :: v_dual_fmamk_f32 v6, v78, 0x3f5db3d7, v16
	v_dual_fmac_f32 v16, 0xbf5db3d7, v78 :: v_dual_add_f32 v9, v1, v71
	s_delay_alu instid0(VALU_DEP_4) | instskip(SKIP_2) | instid1(VALU_DEP_4)
	v_dual_sub_f32 v20, v23, v7 :: v_dual_mul_f32 v75, -0.5, v17
	v_dual_add_f32 v14, v23, v7 :: v_dual_mul_f32 v23, -0.5, v61
	v_fmamk_f32 v66, v74, 0x3f5db3d7, v2
	v_dual_fmac_f32 v2, 0xbf5db3d7, v74 :: v_dual_mul_f32 v73, -0.5, v16
	s_delay_alu instid0(VALU_DEP_4) | instskip(NEXT) | instid1(VALU_DEP_4)
	v_fmac_f32_e32 v75, 0xbf5db3d7, v16
	v_dual_mul_f32 v18, 0x3f5db3d7, v65 :: v_dual_fmac_f32 v23, 0x3f5db3d7, v19
	v_add_f32_e32 v7, v63, v62
	s_delay_alu instid0(VALU_DEP_4) | instskip(NEXT) | instid1(VALU_DEP_4)
	v_fmac_f32_e32 v73, 0x3f5db3d7, v17
	v_dual_mul_f32 v74, 0xbf5db3d7, v6 :: v_dual_add_f32 v19, v3, v75
	s_delay_alu instid0(VALU_DEP_4) | instskip(SKIP_1) | instid1(VALU_DEP_3)
	v_dual_sub_f32 v3, v3, v75 :: v_dual_fmac_f32 v18, 0.5, v64
	v_sub_f32_e32 v24, v0, v23
	v_fmac_f32_e32 v74, 0.5, v8
	v_mul_f32_e32 v72, 0x3f5db3d7, v8
	v_add_f32_e32 v8, v0, v23
	v_sub_f32_e32 v22, v25, v18
	v_sub_f32_e32 v23, v63, v62
	v_add_f32_e32 v17, v70, v74
	v_fmac_f32_e32 v72, 0.5, v6
	v_add_f32_e32 v6, v25, v18
	v_dual_sub_f32 v25, v1, v71 :: v_dual_add_f32 v18, v2, v73
	v_sub_f32_e32 v2, v2, v73
	s_delay_alu instid0(VALU_DEP_4)
	v_add_f32_e32 v16, v66, v72
	v_sub_f32_e32 v0, v66, v72
	v_sub_f32_e32 v1, v70, v74
	ds_store_b128 v86, v[4:7]
	ds_store_b128 v86, v[8:11] offset:16
	ds_store_b128 v86, v[22:25] offset:32
	ds_store_b128 v85, v[14:17]
	ds_store_b128 v85, v[18:21] offset:16
	ds_store_b128 v85, v[0:3] offset:32
	global_wb scope:SCOPE_SE
	s_wait_dscnt 0x0
	s_barrier_signal -1
	s_barrier_wait -1
	global_inv scope:SCOPE_SE
	s_clause 0x1
	global_load_b128 v[8:11], v[26:27], off
	global_load_b64 v[65:66], v[26:27], off offset:16
	v_mad_co_u64_u32 v[14:15], null, v69, 24, s[10:11]
	s_clause 0x3
	global_load_b128 v[4:7], v[28:29], off
	global_load_b64 v[63:64], v[28:29], off offset:16
	global_load_b128 v[0:3], v[14:15], off
	global_load_b64 v[61:62], v[14:15], off offset:16
	v_subrev_nc_u32_e32 v14, 24, v79
	v_and_b32_e32 v17, 0xffff, v34
	v_and_b32_e32 v18, 0xffff, v35
	s_wait_alu 0xfffd
	s_delay_alu instid0(VALU_DEP_3) | instskip(SKIP_3) | instid1(VALU_DEP_4)
	v_cndmask_b32_e32 v87, v14, v79, vcc_lo
	v_mul_lo_u16 v14, v31, 24
	v_mul_u32_u24_e32 v29, 24, v17
	v_mul_u32_u24_e32 v31, 24, v18
	v_mul_i32_i24_e32 v16, 24, v87
	v_mul_hi_i32_i24_e32 v15, 24, v87
	v_or_b32_e32 v19, v14, v67
	v_or_b32_e32 v33, v29, v68
	;; [unrolled: 1-line block ×3, first 2 shown]
	v_add_co_u32 v71, vcc_lo, s10, v16
	s_wait_alu 0xfffd
	v_add_co_ci_u32_e32 v72, vcc_lo, s11, v15, vcc_lo
	v_mul_lo_u16 v15, v91, 24
	v_mul_lo_u16 v16, v92, 24
	ds_load_2addr_b64 v[67:70], v81 offset1:32
	v_add_lshl_u32 v88, v12, v34, 3
	v_add_lshl_u32 v89, v12, v33, 3
	v_sub_nc_u16 v21, v13, v15
	v_sub_nc_u16 v25, v30, v16
	v_and_or_b32 v30, 0xff, v19, v12
	ds_load_2addr_b64 v[13:16], v81 offset0:64 offset1:96
	ds_load_2addr_b64 v[17:20], v81 offset0:192 offset1:224
	v_and_b32_e32 v93, 0xff, v21
	ds_load_2addr_b64 v[21:24], v83 offset1:32
	v_and_b32_e32 v98, 0xff, v25
	ds_load_2addr_b64 v[25:28], v81 offset0:128 offset1:160
	v_cmp_lt_u32_e32 vcc_lo, 23, v79
	v_mad_co_u64_u32 v[73:74], null, v93, 24, s[10:11]
	s_wait_loadcnt_dscnt 0x502
	v_mul_f32_e32 v35, v18, v11
	s_wait_loadcnt_dscnt 0x401
	v_mul_f32_e32 v77, v23, v66
	v_lshlrev_b32_e32 v90, 3, v30
	ds_load_2addr_b64 v[29:32], v83 offset0:64 offset1:96
	v_dual_mul_f32 v75, v17, v11 :: v_dual_mul_f32 v34, v15, v9
	s_wait_loadcnt 0x3
	v_mul_f32_e32 v95, v20, v7
	s_wait_loadcnt_dscnt 0x101
	v_mul_f32_e32 v101, v27, v1
	v_mul_f32_e32 v78, v26, v5
	v_dual_mul_f32 v102, v22, v3 :: v_dual_mul_f32 v33, v16, v9
	v_mul_f32_e32 v103, v21, v3
	v_dual_mul_f32 v94, v25, v5 :: v_dual_fmac_f32 v75, v18, v10
	v_fmac_f32_e32 v34, v16, v8
	v_fma_f32 v16, v17, v10, -v35
	v_fmac_f32_e32 v101, v28, v0
	v_fma_f32 v18, v25, v4, -v78
	v_fma_f32 v21, v21, v2, -v102
	;; [unrolled: 1-line block ×3, first 2 shown]
	v_fmac_f32_e32 v77, v24, v65
	v_fmac_f32_e32 v103, v22, v2
	v_dual_fmac_f32 v94, v26, v4 :: v_dual_sub_f32 v25, v68, v75
	s_wait_dscnt 0x0
	v_mul_f32_e32 v97, v30, v64
	s_wait_loadcnt 0x0
	v_mul_f32_e32 v105, v31, v62
	v_dual_mul_f32 v96, v19, v7 :: v_dual_mul_f32 v99, v29, v64
	v_mul_f32_e32 v76, v24, v66
	v_fma_f32 v19, v19, v6, -v95
	s_delay_alu instid0(VALU_DEP_4) | instskip(NEXT) | instid1(VALU_DEP_4)
	v_fmac_f32_e32 v105, v32, v61
	v_fmac_f32_e32 v96, v20, v6
	v_fma_f32 v20, v29, v63, -v97
	v_dual_mul_f32 v104, v32, v62 :: v_dual_fmac_f32 v99, v30, v63
	v_fma_f32 v17, v23, v65, -v76
	v_dual_sub_f32 v29, v13, v21 :: v_dual_sub_f32 v24, v67, v16
	s_delay_alu instid0(VALU_DEP_4)
	v_dual_sub_f32 v26, v69, v19 :: v_dual_sub_f32 v19, v18, v20
	v_mul_f32_e32 v100, v28, v1
	v_sub_f32_e32 v20, v94, v99
	v_sub_f32_e32 v16, v15, v17
	;; [unrolled: 1-line block ×3, first 2 shown]
	v_fma_f32 v22, v31, v61, -v104
	v_fma_f32 v23, v27, v0, -v100
	v_sub_f32_e32 v27, v70, v96
	v_fma_f32 v28, v15, 2.0, -v16
	v_sub_f32_e32 v30, v14, v103
	v_fma_f32 v32, v68, 2.0, -v25
	;; [unrolled: 2-line block ×3, first 2 shown]
	v_fma_f32 v34, v69, 2.0, -v26
	v_sub_f32_e32 v22, v101, v105
	v_fma_f32 v69, v13, 2.0, -v29
	v_fma_f32 v35, v70, 2.0, -v27
	;; [unrolled: 1-line block ×4, first 2 shown]
	v_sub_f32_e32 v13, v29, v22
	v_fma_f32 v31, v67, 2.0, -v24
	v_fma_f32 v67, v18, 2.0, -v19
	v_dual_sub_f32 v15, v24, v17 :: v_dual_add_f32 v18, v27, v19
	s_delay_alu instid0(VALU_DEP_3)
	v_dual_add_f32 v14, v30, v21 :: v_dual_sub_f32 v19, v31, v28
	v_fma_f32 v68, v94, 2.0, -v20
	v_sub_f32_e32 v17, v26, v20
	v_dual_add_f32 v16, v25, v16 :: v_dual_sub_f32 v23, v34, v67
	v_fma_f32 v76, v101, 2.0, -v22
	v_sub_f32_e32 v20, v32, v33
	v_fma_f32 v21, v24, 2.0, -v15
	v_sub_f32_e32 v24, v35, v68
	v_fma_f32 v22, v25, 2.0, -v16
	v_fma_f32 v25, v26, 2.0, -v17
	;; [unrolled: 1-line block ×3, first 2 shown]
	v_dual_sub_f32 v27, v69, v75 :: v_dual_sub_f32 v28, v70, v76
	v_fma_f32 v31, v31, 2.0, -v19
	v_fma_f32 v32, v32, 2.0, -v20
	;; [unrolled: 1-line block ×8, first 2 shown]
	global_wb scope:SCOPE_SE
	s_barrier_signal -1
	s_barrier_wait -1
	global_inv scope:SCOPE_SE
	ds_store_2addr_b64 v90, v[19:20], v[15:16] offset0:12 offset1:18
	ds_store_2addr_b64 v90, v[31:32], v[21:22] offset1:6
	ds_store_2addr_b64 v89, v[33:34], v[25:26] offset1:6
	ds_store_2addr_b64 v89, v[23:24], v[17:18] offset0:12 offset1:18
	ds_store_2addr_b64 v88, v[67:68], v[29:30] offset1:6
	ds_store_2addr_b64 v88, v[27:28], v[13:14] offset0:12 offset1:18
	v_mad_co_u64_u32 v[13:14], null, v98, 24, s[10:11]
	global_wb scope:SCOPE_SE
	s_wait_dscnt 0x0
	s_barrier_signal -1
	s_barrier_wait -1
	global_inv scope:SCOPE_SE
	s_clause 0x5
	global_load_b128 v[32:35], v[71:72], off offset:144
	global_load_b64 v[77:78], v[71:72], off offset:160
	global_load_b128 v[28:31], v[73:74], off offset:144
	global_load_b64 v[75:76], v[73:74], off offset:160
	;; [unrolled: 2-line block ×3, first 2 shown]
	ds_load_2addr_b64 v[94:97], v81 offset0:128 offset1:160
	v_and_b32_e32 v22, 0xffff, v92
	s_wait_alu 0xfffd
	v_cndmask_b32_e64 v13, 0, 0x60, vcc_lo
	v_and_b32_e32 v17, 0xffff, v91
	ds_load_2addr_b64 v[67:70], v83 offset1:32
	ds_load_2addr_b64 v[102:105], v81 offset1:32
	v_or_b32_e32 v21, v87, v13
	ds_load_2addr_b64 v[13:16], v81 offset0:64 offset1:96
	v_mul_u32_u24_e32 v71, 0x60, v17
	ds_load_2addr_b64 v[17:20], v81 offset0:192 offset1:224
	v_or_b32_e32 v23, v12, v21
	v_add_lshl_u32 v87, v12, v21, 3
	v_or_b32_e32 v21, v71, v93
	v_mad_co_u64_u32 v[71:72], null, v79, 24, s[10:11]
	s_delay_alu instid0(VALU_DEP_4) | instskip(NEXT) | instid1(VALU_DEP_3)
	v_lshlrev_b32_e32 v93, 3, v23
	v_add_lshl_u32 v92, v12, v21, 3
	s_wait_loadcnt_dscnt 0x304
	v_mul_f32_e32 v109, v94, v29
	v_mul_u32_u24_e32 v22, 0x60, v22
	s_wait_dscnt 0x1
	v_mul_f32_e32 v21, v15, v33
	s_wait_dscnt 0x0
	v_dual_mul_f32 v23, v17, v35 :: v_dual_mul_f32 v106, v70, v78
	s_wait_loadcnt 0x1
	v_mul_f32_e32 v117, v67, v27
	v_or_b32_e32 v22, v22, v98
	ds_load_2addr_b64 v[98:101], v83 offset0:64 offset1:96
	v_dual_mul_f32 v107, v69, v78 :: v_dual_mul_f32 v108, v95, v29
	v_dual_mul_f32 v110, v20, v31 :: v_dual_fmac_f32 v23, v18, v34
	v_add_lshl_u32 v91, v12, v22, 3
	v_mul_f32_e32 v12, v16, v33
	v_dual_mul_f32 v22, v18, v35 :: v_dual_mul_f32 v115, v96, v25
	v_mul_f32_e32 v111, v19, v31
	v_dual_mul_f32 v116, v68, v27 :: v_dual_fmac_f32 v109, v95, v28
	v_dual_mul_f32 v114, v97, v25 :: v_dual_fmac_f32 v21, v16, v32
	v_fma_f32 v16, v69, v77, -v106
	v_fmac_f32_e32 v107, v70, v77
	v_fma_f32 v18, v19, v30, -v110
	global_wb scope:SCOPE_SE
	s_wait_loadcnt_dscnt 0x0
	s_barrier_signal -1
	s_barrier_wait -1
	v_mul_f32_e32 v112, v99, v76
	v_dual_mul_f32 v113, v98, v76 :: v_dual_mul_f32 v118, v101, v74
	v_mul_f32_e32 v119, v100, v74
	v_fma_f32 v12, v15, v32, -v12
	v_fma_f32 v15, v17, v34, -v22
	s_delay_alu instid0(VALU_DEP_4)
	v_fmac_f32_e32 v113, v99, v75
	v_fma_f32 v17, v94, v28, -v108
	v_fmac_f32_e32 v111, v20, v30
	v_fma_f32 v19, v98, v75, -v112
	v_fma_f32 v22, v67, v26, -v116
	;; [unrolled: 1-line block ×3, first 2 shown]
	v_fmac_f32_e32 v117, v68, v26
	v_fma_f32 v67, v100, v73, -v118
	v_dual_fmac_f32 v119, v101, v73 :: v_dual_sub_f32 v16, v12, v16
	v_sub_f32_e32 v68, v102, v15
	v_dual_sub_f32 v23, v103, v23 :: v_dual_sub_f32 v96, v13, v22
	v_sub_f32_e32 v15, v21, v107
	v_dual_sub_f32 v69, v104, v18 :: v_dual_sub_f32 v18, v17, v19
	v_sub_f32_e32 v70, v105, v111
	v_sub_f32_e32 v19, v109, v113
	v_dual_fmac_f32 v115, v97, v24 :: v_dual_sub_f32 v22, v20, v67
	v_fma_f32 v98, v102, 2.0, -v68
	v_fma_f32 v99, v103, 2.0, -v23
	;; [unrolled: 1-line block ×3, first 2 shown]
	v_add_f32_e32 v16, v23, v16
	v_fma_f32 v21, v21, 2.0, -v15
	v_sub_f32_e32 v15, v68, v15
	v_fma_f32 v101, v105, 2.0, -v70
	v_fma_f32 v95, v17, 2.0, -v18
	v_add_f32_e32 v18, v70, v18
	v_fma_f32 v102, v109, 2.0, -v19
	v_sub_f32_e32 v67, v115, v119
	v_fma_f32 v100, v104, 2.0, -v69
	v_fma_f32 v104, v20, 2.0, -v22
	v_sub_f32_e32 v20, v99, v21
	v_fma_f32 v21, v68, 2.0, -v15
	v_dual_sub_f32 v68, v101, v102 :: v_dual_sub_f32 v97, v14, v117
	v_sub_f32_e32 v12, v96, v67
	v_fma_f32 v103, v13, 2.0, -v96
	v_sub_f32_e32 v17, v69, v19
	v_fma_f32 v105, v115, 2.0, -v67
	v_fma_f32 v14, v14, 2.0, -v97
	v_sub_f32_e32 v19, v98, v94
	v_sub_f32_e32 v67, v100, v95
	v_dual_add_f32 v13, v97, v22 :: v_dual_sub_f32 v94, v103, v104
	s_delay_alu instid0(VALU_DEP_4) | instskip(NEXT) | instid1(VALU_DEP_4)
	v_sub_f32_e32 v95, v14, v105
	v_fma_f32 v98, v98, 2.0, -v19
	v_fma_f32 v99, v99, 2.0, -v20
	;; [unrolled: 1-line block ×7, first 2 shown]
	global_inv scope:SCOPE_SE
	v_fma_f32 v96, v96, 2.0, -v12
	v_fma_f32 v97, v97, 2.0, -v13
	;; [unrolled: 1-line block ×4, first 2 shown]
	ds_store_b64 v93, v[98:99]
	ds_store_2addr_b64 v87, v[21:22], v[19:20] offset0:24 offset1:48
	ds_store_b64 v87, v[15:16] offset:576
	ds_store_2addr_b64 v92, v[100:101], v[69:70] offset1:24
	ds_store_2addr_b64 v92, v[67:68], v[17:18] offset0:48 offset1:72
	ds_store_2addr_b64 v91, v[102:103], v[96:97] offset1:24
	ds_store_2addr_b64 v91, v[94:95], v[12:13] offset0:48 offset1:72
	global_wb scope:SCOPE_SE
	s_wait_dscnt 0x0
	s_barrier_signal -1
	s_barrier_wait -1
	global_inv scope:SCOPE_SE
	s_clause 0x5
	global_load_b128 v[12:15], v[71:72], off offset:720
	global_load_b64 v[67:68], v[71:72], off offset:736
	global_load_b128 v[16:19], v[71:72], off offset:1488
	global_load_b64 v[69:70], v[71:72], off offset:1504
	;; [unrolled: 2-line block ×3, first 2 shown]
	ds_load_2addr_b64 v[94:97], v81 offset0:64 offset1:96
	ds_load_2addr_b64 v[98:101], v81 offset0:192 offset1:224
	ds_load_2addr_b64 v[102:105], v83 offset1:32
	ds_load_2addr_b64 v[106:109], v81 offset0:128 offset1:160
	ds_load_2addr_b64 v[110:113], v83 offset0:64 offset1:96
	ds_load_2addr_b64 v[114:117], v81 offset1:32
	s_wait_loadcnt_dscnt 0x505
	v_mul_f32_e32 v119, v96, v13
	s_wait_loadcnt_dscnt 0x302
	v_dual_mul_f32 v121, v98, v15 :: v_dual_mul_f32 v124, v107, v17
	v_mul_f32_e32 v126, v101, v19
	s_wait_loadcnt_dscnt 0x1
	v_dual_mul_f32 v127, v100, v19 :: v_dual_mul_f32 v134, v113, v72
	v_mul_f32_e32 v128, v111, v70
	v_mul_f32_e32 v120, v99, v15
	;; [unrolled: 1-line block ×3, first 2 shown]
	v_dual_mul_f32 v123, v104, v68 :: v_dual_mul_f32 v130, v109, v21
	v_dual_mul_f32 v125, v106, v17 :: v_dual_mul_f32 v132, v103, v23
	v_fmac_f32_e32 v121, v99, v14
	v_fma_f32 v99, v106, v16, -v124
	v_fma_f32 v100, v100, v18, -v126
	v_fmac_f32_e32 v127, v101, v18
	v_fma_f32 v101, v110, v69, -v128
	v_dual_mul_f32 v133, v102, v23 :: v_dual_mul_f32 v118, v97, v13
	v_mul_f32_e32 v129, v110, v70
	v_fmac_f32_e32 v125, v107, v16
	v_fma_f32 v102, v102, v22, -v132
	v_fmac_f32_e32 v119, v97, v12
	v_fma_f32 v97, v98, v14, -v120
	v_fma_f32 v98, v104, v67, -v122
	;; [unrolled: 1-line block ×3, first 2 shown]
	s_wait_dscnt 0x0
	v_dual_sub_f32 v110, v94, v102 :: v_dual_sub_f32 v107, v116, v100
	v_sub_f32_e32 v100, v99, v101
	v_fmac_f32_e32 v133, v103, v22
	v_fma_f32 v103, v112, v71, -v134
	v_fma_f32 v96, v96, v12, -v118
	v_mul_f32_e32 v135, v112, v72
	s_delay_alu instid0(VALU_DEP_3) | instskip(SKIP_3) | instid1(VALU_DEP_4)
	v_sub_f32_e32 v102, v104, v103
	v_sub_f32_e32 v106, v115, v121
	v_fmac_f32_e32 v129, v111, v69
	v_sub_f32_e32 v111, v95, v133
	v_fma_f32 v121, v104, 2.0, -v102
	s_delay_alu instid0(VALU_DEP_3)
	v_sub_f32_e32 v101, v125, v129
	v_fmac_f32_e32 v123, v105, v67
	v_mul_f32_e32 v131, v108, v21
	v_sub_f32_e32 v105, v114, v97
	v_dual_sub_f32 v97, v96, v98 :: v_dual_sub_f32 v108, v117, v127
	v_fmac_f32_e32 v135, v113, v71
	v_sub_f32_e32 v98, v119, v123
	s_delay_alu instid0(VALU_DEP_4)
	v_fma_f32 v112, v114, 2.0, -v105
	v_fmac_f32_e32 v131, v109, v20
	v_fma_f32 v113, v115, 2.0, -v106
	v_fma_f32 v109, v96, 2.0, -v97
	;; [unrolled: 1-line block ×5, first 2 shown]
	v_add_f32_e32 v99, v108, v100
	v_sub_f32_e32 v100, v112, v109
	v_fma_f32 v114, v119, 2.0, -v98
	v_sub_f32_e32 v96, v105, v98
	v_sub_f32_e32 v104, v115, v117
	;; [unrolled: 1-line block ×3, first 2 shown]
	v_add_f32_e32 v97, v106, v97
	v_fma_f32 v118, v125, 2.0, -v101
	v_sub_f32_e32 v98, v107, v101
	v_fma_f32 v119, v94, 2.0, -v110
	v_fma_f32 v120, v95, 2.0, -v111
	;; [unrolled: 1-line block ×3, first 2 shown]
	v_dual_sub_f32 v101, v113, v114 :: v_dual_sub_f32 v94, v110, v103
	v_add_f32_e32 v95, v111, v102
	v_fma_f32 v102, v105, 2.0, -v96
	v_fma_f32 v103, v106, 2.0, -v97
	v_sub_f32_e32 v105, v116, v118
	v_fma_f32 v106, v107, 2.0, -v98
	v_fma_f32 v107, v108, 2.0, -v99
	v_dual_sub_f32 v108, v119, v121 :: v_dual_sub_f32 v109, v120, v122
	v_fma_f32 v112, v112, 2.0, -v100
	v_fma_f32 v113, v113, 2.0, -v101
	;; [unrolled: 1-line block ×8, first 2 shown]
	ds_store_b64 v81, v[112:113]
	ds_store_b64 v81, v[102:103] offset:768
	ds_store_b64 v82, v[100:101] offset:1536
	;; [unrolled: 1-line block ×11, first 2 shown]
	global_wb scope:SCOPE_SE
	s_wait_dscnt 0x0
	s_barrier_signal -1
	s_barrier_wait -1
	global_inv scope:SCOPE_SE
	s_clause 0xb
	global_load_b64 v[94:95], v84, s[8:9] offset:3072
	global_load_b64 v[96:97], v84, s[2:3] offset:512
	;; [unrolled: 1-line block ×12, first 2 shown]
	ds_load_b64 v[118:119], v81
	ds_load_b64 v[120:121], v81 offset:512
	s_mov_b32 s2, 0x55555555
	s_mov_b32 s3, 0x3f655555
	s_wait_loadcnt_dscnt 0xb01
	v_mul_f32_e32 v84, v119, v95
	s_wait_loadcnt_dscnt 0xa00
	v_dual_mul_f32 v123, v118, v95 :: v_dual_mul_f32 v124, v121, v97
	v_mul_f32_e32 v95, v120, v97
	s_delay_alu instid0(VALU_DEP_3) | instskip(NEXT) | instid1(VALU_DEP_3)
	v_fma_f32 v122, v118, v94, -v84
	v_fmac_f32_e32 v123, v119, v94
	s_delay_alu instid0(VALU_DEP_4) | instskip(NEXT) | instid1(VALU_DEP_4)
	v_fma_f32 v94, v120, v96, -v124
	v_fmac_f32_e32 v95, v121, v96
	ds_store_b64 v81, v[122:123]
	ds_store_b64 v81, v[94:95] offset:512
	ds_load_b64 v[94:95], v82 offset:1024
	s_wait_loadcnt_dscnt 0x900
	v_mul_f32_e32 v84, v95, v99
	v_mul_f32_e32 v97, v94, v99
	s_delay_alu instid0(VALU_DEP_2) | instskip(NEXT) | instid1(VALU_DEP_2)
	v_fma_f32 v96, v94, v98, -v84
	v_fmac_f32_e32 v97, v95, v98
	ds_store_b64 v82, v[96:97] offset:1024
	ds_load_b64 v[94:95], v81 offset:1536
	s_wait_loadcnt_dscnt 0x800
	v_mul_f32_e32 v84, v95, v101
	v_mul_f32_e32 v97, v94, v101
	s_delay_alu instid0(VALU_DEP_2) | instskip(NEXT) | instid1(VALU_DEP_2)
	v_fma_f32 v96, v94, v100, -v84
	v_fmac_f32_e32 v97, v95, v100
	ds_store_b64 v81, v[96:97] offset:1536
	ds_load_b64 v[94:95], v82 offset:2048
	ds_load_b64 v[96:97], v82 offset:2560
	s_wait_loadcnt_dscnt 0x701
	v_mul_f32_e32 v84, v95, v103
	s_wait_loadcnt_dscnt 0x600
	v_dual_mul_f32 v99, v94, v103 :: v_dual_mul_f32 v100, v97, v105
	v_mul_f32_e32 v101, v96, v105
	s_delay_alu instid0(VALU_DEP_3) | instskip(NEXT) | instid1(VALU_DEP_3)
	v_fma_f32 v98, v94, v102, -v84
	v_fmac_f32_e32 v99, v95, v102
	s_delay_alu instid0(VALU_DEP_4) | instskip(NEXT) | instid1(VALU_DEP_4)
	v_fma_f32 v100, v96, v104, -v100
	v_fmac_f32_e32 v101, v97, v104
	ds_store_b64 v82, v[98:99] offset:2048
	ds_store_b64 v82, v[100:101] offset:2560
	ds_load_b64 v[94:95], v81 offset:256
	ds_load_b64 v[96:97], v81 offset:768
	s_wait_loadcnt_dscnt 0x401
	v_mul_f32_e32 v84, v95, v109
	s_wait_dscnt 0x0
	v_dual_mul_f32 v99, v94, v109 :: v_dual_mul_f32 v100, v97, v107
	v_mul_f32_e32 v101, v96, v107
	s_delay_alu instid0(VALU_DEP_3) | instskip(NEXT) | instid1(VALU_DEP_3)
	v_fma_f32 v98, v94, v108, -v84
	v_fmac_f32_e32 v99, v95, v108
	s_delay_alu instid0(VALU_DEP_4) | instskip(NEXT) | instid1(VALU_DEP_4)
	v_fma_f32 v100, v96, v106, -v100
	v_fmac_f32_e32 v101, v97, v106
	ds_store_b64 v81, v[98:99] offset:256
	ds_store_b64 v81, v[100:101] offset:768
	ds_load_b64 v[94:95], v82 offset:1280
	s_wait_loadcnt_dscnt 0x200
	v_mul_f32_e32 v84, v95, v113
	v_mul_f32_e32 v97, v94, v113
	s_delay_alu instid0(VALU_DEP_2) | instskip(NEXT) | instid1(VALU_DEP_2)
	v_fma_f32 v96, v94, v112, -v84
	v_fmac_f32_e32 v97, v95, v112
	ds_store_b64 v82, v[96:97] offset:1280
	ds_load_b64 v[94:95], v81 offset:1792
	s_wait_dscnt 0x0
	v_mul_f32_e32 v84, v95, v111
	v_mul_f32_e32 v97, v94, v111
	s_delay_alu instid0(VALU_DEP_2) | instskip(NEXT) | instid1(VALU_DEP_2)
	v_fma_f32 v96, v94, v110, -v84
	v_fmac_f32_e32 v97, v95, v110
	ds_store_b64 v81, v[96:97] offset:1792
	ds_load_b64 v[94:95], v82 offset:2304
	ds_load_b64 v[96:97], v82 offset:2816
	s_wait_loadcnt_dscnt 0x1
	v_mul_f32_e32 v84, v95, v117
	s_wait_dscnt 0x0
	v_dual_mul_f32 v99, v94, v117 :: v_dual_mul_f32 v100, v97, v115
	v_mul_f32_e32 v101, v96, v115
	s_delay_alu instid0(VALU_DEP_3) | instskip(NEXT) | instid1(VALU_DEP_3)
	v_fma_f32 v98, v94, v116, -v84
	v_fmac_f32_e32 v99, v95, v116
	s_delay_alu instid0(VALU_DEP_4) | instskip(NEXT) | instid1(VALU_DEP_4)
	v_fma_f32 v100, v96, v114, -v100
	v_fmac_f32_e32 v101, v97, v114
	ds_store_b64 v82, v[98:99] offset:2304
	ds_store_b64 v82, v[100:101] offset:2816
	global_wb scope:SCOPE_SE
	s_wait_dscnt 0x0
	s_barrier_signal -1
	s_barrier_wait -1
	global_inv scope:SCOPE_SE
	ds_load_2addr_b64 v[94:97], v81 offset1:32
	ds_load_2addr_b64 v[98:101], v82 offset0:128 offset1:160
	ds_load_2addr_b64 v[102:105], v80 offset1:32
	ds_load_2addr_b64 v[106:109], v81 offset0:64 offset1:96
	ds_load_2addr_b64 v[110:113], v81 offset0:192 offset1:224
	;; [unrolled: 1-line block ×3, first 2 shown]
	global_wb scope:SCOPE_SE
	s_wait_dscnt 0x0
	s_barrier_signal -1
	s_barrier_wait -1
	global_inv scope:SCOPE_SE
	v_add_f32_e32 v84, v94, v98
	v_add_f32_e32 v118, v98, v102
	;; [unrolled: 1-line block ×4, first 2 shown]
	v_sub_f32_e32 v123, v111, v115
	v_dual_add_f32 v111, v111, v115 :: v_dual_add_f32 v130, v112, v116
	v_dual_add_f32 v122, v110, v114 :: v_dual_sub_f32 v127, v101, v105
	v_add_f32_e32 v128, v97, v101
	v_add_f32_e32 v101, v101, v105
	;; [unrolled: 1-line block ×3, first 2 shown]
	v_sub_f32_e32 v131, v113, v117
	v_add_f32_e32 v132, v109, v113
	v_add_f32_e32 v113, v113, v117
	v_fma_f32 v111, -0.5, v111, v107
	v_fma_f32 v108, -0.5, v130, v108
	v_add_f32_e32 v121, v106, v110
	v_sub_f32_e32 v110, v110, v114
	v_dual_sub_f32 v98, v98, v102 :: v_dual_add_f32 v125, v96, v100
	v_add_f32_e32 v126, v100, v104
	v_sub_f32_e32 v100, v100, v104
	v_sub_f32_e32 v112, v112, v116
	v_add_f32_e32 v84, v84, v102
	v_fma_f32 v94, -0.5, v118, v94
	v_add_f32_e32 v102, v120, v103
	v_add_f32_e32 v118, v128, v105
	v_fmac_f32_e32 v97, -0.5, v101
	v_sub_f32_e32 v119, v99, v103
	v_dual_add_f32 v101, v129, v116 :: v_dual_add_f32 v116, v132, v117
	v_fmac_f32_e32 v109, -0.5, v113
	v_add_f32_e32 v99, v99, v103
	v_add_f32_e32 v103, v121, v114
	v_fma_f32 v114, -0.5, v122, v106
	v_dual_add_f32 v106, v124, v115 :: v_dual_fmamk_f32 v121, v110, 0x3f5db3d7, v111
	s_delay_alu instid0(VALU_DEP_4) | instskip(SKIP_2) | instid1(VALU_DEP_4)
	v_fma_f32 v95, -0.5, v99, v95
	v_fmac_f32_e32 v111, 0xbf5db3d7, v110
	v_add_f32_e32 v107, v118, v116
	v_add_f32_e32 v99, v102, v106
	v_dual_sub_f32 v105, v102, v106 :: v_dual_fmamk_f32 v102, v112, 0x3f5db3d7, v109
	v_dual_sub_f32 v113, v118, v116 :: v_dual_mul_f32 v110, 0xbf5db3d7, v121
	v_fmamk_f32 v120, v123, 0xbf5db3d7, v114
	v_mul_f32_e32 v118, 0.5, v121
	v_fmamk_f32 v122, v100, 0x3f5db3d7, v97
	v_fmac_f32_e32 v97, 0xbf5db3d7, v100
	v_fmac_f32_e32 v109, 0xbf5db3d7, v112
	v_mul_f32_e32 v121, 0xbf5db3d7, v102
	v_fmac_f32_e32 v118, 0x3f5db3d7, v120
	v_fmamk_f32 v100, v131, 0xbf5db3d7, v108
	v_fma_f32 v96, -0.5, v126, v96
	v_fmac_f32_e32 v114, 0x3f5db3d7, v123
	v_fmac_f32_e32 v108, 0x3f5db3d7, v131
	v_mul_f32_e32 v123, 0xbf5db3d7, v109
	v_fmac_f32_e32 v121, 0.5, v100
	v_add_f32_e32 v115, v125, v104
	v_fmamk_f32 v117, v119, 0xbf5db3d7, v94
	v_fmac_f32_e32 v94, 0x3f5db3d7, v119
	v_dual_mul_f32 v124, 0.5, v102 :: v_dual_mul_f32 v125, -0.5, v109
	s_delay_alu instid0(VALU_DEP_4)
	v_sub_f32_e32 v112, v115, v101
	v_dual_sub_f32 v104, v84, v103 :: v_dual_fmac_f32 v123, -0.5, v108
	v_fmamk_f32 v119, v98, 0x3f5db3d7, v95
	v_dual_fmac_f32 v95, 0xbf5db3d7, v98 :: v_dual_add_f32 v98, v84, v103
	v_fmamk_f32 v84, v127, 0xbf5db3d7, v96
	v_dual_fmac_f32 v125, 0x3f5db3d7, v108 :: v_dual_fmac_f32 v96, 0x3f5db3d7, v127
	v_fmac_f32_e32 v110, 0.5, v120
	v_fmac_f32_e32 v124, 0x3f5db3d7, v100
	s_delay_alu instid0(VALU_DEP_4) | instskip(SKIP_2) | instid1(VALU_DEP_4)
	v_add_f32_e32 v108, v84, v121
	v_dual_add_f32 v106, v115, v101 :: v_dual_mul_f32 v115, 0xbf5db3d7, v111
	v_mul_f32_e32 v111, -0.5, v111
	v_add_f32_e32 v109, v122, v124
	s_delay_alu instid0(VALU_DEP_3) | instskip(NEXT) | instid1(VALU_DEP_1)
	v_fmac_f32_e32 v115, -0.5, v114
	v_dual_fmac_f32 v111, 0x3f5db3d7, v114 :: v_dual_sub_f32 v116, v94, v115
	v_add_f32_e32 v100, v117, v110
	v_sub_f32_e32 v114, v117, v110
	v_dual_add_f32 v110, v96, v123 :: v_dual_add_f32 v101, v119, v118
	v_add_f32_e32 v102, v94, v115
	v_dual_sub_f32 v94, v84, v121 :: v_dual_add_f32 v103, v95, v111
	v_sub_f32_e32 v115, v119, v118
	v_sub_f32_e32 v117, v95, v111
	v_dual_add_f32 v111, v97, v125 :: v_dual_sub_f32 v96, v96, v123
	v_sub_f32_e32 v95, v122, v124
	v_sub_f32_e32 v97, v97, v125
	ds_store_b128 v86, v[98:101]
	ds_store_b128 v86, v[102:105] offset:16
	ds_store_b128 v86, v[114:117] offset:32
	ds_store_b128 v85, v[106:109]
	ds_store_b128 v85, v[110:113] offset:16
	ds_store_b128 v85, v[94:97] offset:32
	global_wb scope:SCOPE_SE
	s_wait_dscnt 0x0
	s_barrier_signal -1
	s_barrier_wait -1
	global_inv scope:SCOPE_SE
	ds_load_2addr_b64 v[94:97], v81 offset0:64 offset1:96
	ds_load_2addr_b64 v[98:101], v81 offset0:192 offset1:224
	ds_load_2addr_b64 v[102:105], v83 offset1:32
	ds_load_2addr_b64 v[106:109], v81 offset0:128 offset1:160
	ds_load_2addr_b64 v[110:113], v83 offset0:64 offset1:96
	ds_load_2addr_b64 v[114:117], v81 offset1:32
	global_wb scope:SCOPE_SE
	s_wait_dscnt 0x0
	s_barrier_signal -1
	s_barrier_wait -1
	global_inv scope:SCOPE_SE
	v_mul_f32_e32 v84, v9, v97
	v_mul_f32_e32 v9, v9, v96
	;; [unrolled: 1-line block ×3, first 2 shown]
	v_dual_mul_f32 v11, v11, v98 :: v_dual_mul_f32 v86, v66, v105
	v_mul_f32_e32 v66, v66, v104
	v_mul_f32_e32 v118, v5, v107
	;; [unrolled: 1-line block ×4, first 2 shown]
	v_dual_mul_f32 v7, v7, v100 :: v_dual_mul_f32 v120, v64, v111
	v_dual_mul_f32 v64, v64, v110 :: v_dual_mul_f32 v121, v1, v109
	;; [unrolled: 1-line block ×3, first 2 shown]
	v_mul_f32_e32 v3, v3, v102
	v_mul_f32_e32 v123, v62, v113
	;; [unrolled: 1-line block ×3, first 2 shown]
	v_fmac_f32_e32 v84, v8, v96
	v_fma_f32 v8, v8, v97, -v9
	v_fmac_f32_e32 v85, v10, v98
	v_fma_f32 v9, v10, v99, -v11
	;; [unrolled: 2-line block ×9, first 2 shown]
	v_sub_f32_e32 v11, v114, v85
	v_dual_sub_f32 v9, v115, v9 :: v_dual_sub_f32 v2, v84, v86
	v_sub_f32_e32 v3, v8, v10
	v_dual_sub_f32 v61, v116, v119 :: v_dual_sub_f32 v62, v117, v5
	v_dual_sub_f32 v5, v118, v120 :: v_dual_sub_f32 v6, v4, v6
	v_dual_sub_f32 v65, v94, v122 :: v_dual_sub_f32 v66, v95, v0
	v_dual_sub_f32 v10, v121, v123 :: v_dual_sub_f32 v63, v7, v1
	v_fma_f32 v85, v114, 2.0, -v11
	v_fma_f32 v86, v115, 2.0, -v9
	;; [unrolled: 1-line block ×4, first 2 shown]
	v_add_f32_e32 v0, v11, v3
	v_fma_f32 v96, v116, 2.0, -v61
	v_fma_f32 v97, v117, 2.0, -v62
	;; [unrolled: 1-line block ×8, first 2 shown]
	v_sub_f32_e32 v1, v9, v2
	v_add_f32_e32 v2, v61, v6
	v_sub_f32_e32 v6, v85, v64
	v_sub_f32_e32 v7, v86, v8
	;; [unrolled: 1-line block ×4, first 2 shown]
	v_fma_f32 v8, v11, 2.0, -v0
	v_dual_sub_f32 v10, v96, v84 :: v_dual_sub_f32 v11, v97, v98
	v_dual_add_f32 v4, v65, v63 :: v_dual_sub_f32 v63, v99, v94
	v_sub_f32_e32 v64, v100, v95
	v_fma_f32 v9, v9, 2.0, -v1
	v_fma_f32 v84, v85, 2.0, -v6
	;; [unrolled: 1-line block ×11, first 2 shown]
	ds_store_2addr_b64 v90, v[6:7], v[0:1] offset0:12 offset1:18
	ds_store_2addr_b64 v90, v[84:85], v[8:9] offset1:6
	ds_store_2addr_b64 v89, v[94:95], v[61:62] offset1:6
	ds_store_2addr_b64 v89, v[10:11], v[2:3] offset0:12 offset1:18
	ds_store_2addr_b64 v88, v[96:97], v[65:66] offset1:6
	ds_store_2addr_b64 v88, v[63:64], v[4:5] offset0:12 offset1:18
	global_wb scope:SCOPE_SE
	s_wait_dscnt 0x0
	s_barrier_signal -1
	s_barrier_wait -1
	global_inv scope:SCOPE_SE
	ds_load_2addr_b64 v[2:5], v81 offset0:64 offset1:96
	ds_load_2addr_b64 v[6:9], v81 offset0:192 offset1:224
	ds_load_2addr_b64 v[61:64], v83 offset1:32
	ds_load_2addr_b64 v[94:97], v81 offset0:128 offset1:160
	ds_load_2addr_b64 v[98:101], v83 offset0:64 offset1:96
	ds_load_2addr_b64 v[102:105], v81 offset1:32
	global_wb scope:SCOPE_SE
	s_wait_dscnt 0x0
	s_barrier_signal -1
	s_barrier_wait -1
	global_inv scope:SCOPE_SE
	v_mad_co_u64_u32 v[0:1], null, s6, v60, 0
	v_mul_f32_e32 v10, v33, v5
	v_mul_f32_e32 v11, v33, v4
	;; [unrolled: 1-line block ×7, first 2 shown]
	v_dual_mul_f32 v29, v29, v94 :: v_dual_mul_f32 v84, v31, v9
	v_mul_f32_e32 v31, v31, v8
	v_mul_f32_e32 v85, v76, v99
	;; [unrolled: 1-line block ×4, first 2 shown]
	v_dual_mul_f32 v25, v25, v96 :: v_dual_mul_f32 v88, v27, v62
	v_mul_f32_e32 v27, v27, v61
	v_mul_f32_e32 v89, v74, v101
	;; [unrolled: 1-line block ×3, first 2 shown]
	v_fmac_f32_e32 v10, v32, v4
	v_fma_f32 v4, v32, v5, -v11
	v_fmac_f32_e32 v33, v34, v6
	v_fma_f32 v5, v34, v7, -v35
	;; [unrolled: 2-line block ×9, first 2 shown]
	v_sub_f32_e32 v26, v102, v33
	v_sub_f32_e32 v27, v103, v5
	v_dual_sub_f32 v5, v10, v65 :: v_dual_sub_f32 v6, v4, v6
	v_sub_f32_e32 v28, v104, v84
	v_dual_sub_f32 v29, v105, v8 :: v_dual_sub_f32 v8, v78, v85
	v_dual_sub_f32 v9, v7, v9 :: v_dual_sub_f32 v30, v2, v88
	;; [unrolled: 1-line block ×3, first 2 shown]
	v_sub_f32_e32 v25, v11, v25
	v_fma_f32 v32, v102, 2.0, -v26
	v_fma_f32 v33, v103, 2.0, -v27
	;; [unrolled: 1-line block ×8, first 2 shown]
	v_dual_add_f32 v4, v26, v6 :: v_dual_sub_f32 v5, v27, v5
	v_dual_add_f32 v6, v28, v9 :: v_dual_sub_f32 v7, v29, v8
	v_fma_f32 v64, v2, 2.0, -v30
	v_fma_f32 v65, v3, 2.0, -v31
	;; [unrolled: 1-line block ×4, first 2 shown]
	v_sub_f32_e32 v8, v32, v10
	v_dual_sub_f32 v9, v33, v34 :: v_dual_add_f32 v2, v30, v25
	v_sub_f32_e32 v3, v31, v24
	v_dual_sub_f32 v24, v35, v62 :: v_dual_sub_f32 v25, v61, v63
	v_fma_f32 v10, v26, 2.0, -v4
	v_fma_f32 v11, v27, 2.0, -v5
	;; [unrolled: 1-line block ×4, first 2 shown]
	v_dual_sub_f32 v28, v64, v66 :: v_dual_sub_f32 v29, v65, v73
	v_fma_f32 v32, v32, 2.0, -v8
	v_fma_f32 v33, v33, 2.0, -v9
	;; [unrolled: 1-line block ×8, first 2 shown]
	ds_store_b64 v93, v[32:33]
	ds_store_2addr_b64 v87, v[10:11], v[8:9] offset0:24 offset1:48
	ds_store_b64 v87, v[4:5] offset:576
	ds_store_2addr_b64 v92, v[34:35], v[26:27] offset1:24
	ds_store_2addr_b64 v92, v[24:25], v[6:7] offset0:48 offset1:72
	ds_store_2addr_b64 v91, v[61:62], v[30:31] offset1:24
	ds_store_2addr_b64 v91, v[28:29], v[2:3] offset0:48 offset1:72
	global_wb scope:SCOPE_SE
	s_wait_dscnt 0x0
	s_barrier_signal -1
	s_barrier_wait -1
	global_inv scope:SCOPE_SE
	ds_load_2addr_b64 v[2:5], v81 offset0:64 offset1:96
	ds_load_2addr_b64 v[6:9], v81 offset0:192 offset1:224
	ds_load_2addr_b64 v[24:27], v83 offset1:32
	ds_load_2addr_b64 v[28:31], v81 offset0:128 offset1:160
	ds_load_2addr_b64 v[32:35], v83 offset0:64 offset1:96
	v_mad_co_u64_u32 v[64:65], null, s4, v79, 0
	v_add_nc_u32_e32 v73, 0x400, v82
	s_wait_dscnt 0x3
	v_mul_f32_e32 v75, v19, v9
	v_mad_co_u64_u32 v[10:11], null, s7, v60, v[1:2]
	ds_load_2addr_b64 v[60:63], v81 offset1:32
	v_mov_b32_e32 v1, v65
	v_mul_f32_e32 v11, v13, v4
	s_wait_dscnt 0x2
	v_mul_f32_e32 v74, v17, v29
	v_mul_f32_e32 v17, v17, v28
	;; [unrolled: 1-line block ×3, first 2 shown]
	v_mad_co_u64_u32 v[65:66], null, s5, v79, v[1:2]
	v_dual_mov_b32 v1, v10 :: v_dual_mul_f32 v10, v13, v5
	v_mul_f32_e32 v13, v15, v7
	v_dual_mul_f32 v15, v15, v6 :: v_dual_mul_f32 v66, v68, v27
	v_mul_f32_e32 v68, v68, v26
	s_wait_dscnt 0x1
	v_mul_f32_e32 v76, v70, v33
	v_dual_mul_f32 v70, v70, v32 :: v_dual_mul_f32 v77, v21, v31
	v_dual_mul_f32 v21, v21, v30 :: v_dual_mul_f32 v78, v23, v25
	v_mul_f32_e32 v23, v23, v24
	v_mul_f32_e32 v79, v72, v35
	;; [unrolled: 1-line block ×3, first 2 shown]
	v_fmac_f32_e32 v10, v12, v4
	v_fma_f32 v4, v12, v5, -v11
	v_fmac_f32_e32 v13, v14, v6
	v_fma_f32 v5, v14, v7, -v15
	;; [unrolled: 2-line block ×9, first 2 shown]
	s_wait_dscnt 0x0
	v_sub_f32_e32 v13, v60, v13
	v_sub_f32_e32 v15, v61, v5
	;; [unrolled: 1-line block ×4, first 2 shown]
	v_dual_sub_f32 v16, v62, v75 :: v_dual_sub_f32 v17, v63, v8
	v_dual_sub_f32 v8, v74, v76 :: v_dual_sub_f32 v9, v7, v9
	;; [unrolled: 1-line block ×3, first 2 shown]
	v_sub_f32_e32 v12, v77, v79
	v_sub_f32_e32 v14, v11, v14
	v_fma_f32 v20, v60, 2.0, -v13
	v_fma_f32 v21, v61, 2.0, -v15
	;; [unrolled: 1-line block ×4, first 2 shown]
	v_add_f32_e32 v4, v13, v6
	v_fma_f32 v23, v62, 2.0, -v16
	v_fma_f32 v24, v63, 2.0, -v17
	;; [unrolled: 1-line block ×4, first 2 shown]
	v_sub_f32_e32 v5, v15, v5
	v_dual_add_f32 v6, v16, v9 :: v_dual_sub_f32 v7, v17, v8
	v_fma_f32 v27, v2, 2.0, -v18
	v_fma_f32 v28, v3, 2.0, -v19
	v_fma_f32 v29, v77, 2.0, -v12
	v_fma_f32 v30, v11, 2.0, -v14
	v_sub_f32_e32 v8, v20, v10
	v_sub_f32_e32 v9, v21, v22
	;; [unrolled: 1-line block ×3, first 2 shown]
	v_fma_f32 v10, v13, 2.0, -v4
	v_dual_sub_f32 v12, v23, v25 :: v_dual_sub_f32 v13, v24, v26
	v_add_f32_e32 v2, v18, v14
	v_fma_f32 v11, v15, 2.0, -v5
	v_fma_f32 v14, v16, 2.0, -v6
	;; [unrolled: 1-line block ×3, first 2 shown]
	v_dual_sub_f32 v16, v27, v29 :: v_dual_sub_f32 v17, v28, v30
	v_fma_f32 v20, v20, 2.0, -v8
	v_fma_f32 v21, v21, 2.0, -v9
	;; [unrolled: 1-line block ×8, first 2 shown]
	ds_store_2addr_b64 v81, v[10:11], v[8:9] offset0:96 offset1:192
	ds_store_b64 v81, v[20:21]
	ds_store_b64 v82, v[4:5] offset:2304
	ds_store_b64 v81, v[22:23] offset:256
	;; [unrolled: 1-line block ×6, first 2 shown]
	ds_store_2addr_b64 v73, v[18:19], v[16:17] offset0:32 offset1:128
	ds_store_b64 v82, v[2:3] offset:2816
	global_wb scope:SCOPE_SE
	s_wait_dscnt 0x0
	s_barrier_signal -1
	s_barrier_wait -1
	global_inv scope:SCOPE_SE
	ds_load_2addr_b64 v[2:5], v81 offset1:32
	ds_load_2addr_b64 v[6:9], v81 offset0:64 offset1:96
	ds_load_2addr_b64 v[10:13], v82 offset0:128 offset1:160
	;; [unrolled: 1-line block ×3, first 2 shown]
	ds_load_2addr_b64 v[18:21], v80 offset1:32
	ds_load_2addr_b64 v[22:25], v80 offset0:64 offset1:96
	v_lshlrev_b64_e32 v[0:1], 3, v[0:1]
	v_lshlrev_b64_e32 v[26:27], 3, v[64:65]
	s_delay_alu instid0(VALU_DEP_2) | instskip(SKIP_1) | instid1(VALU_DEP_3)
	v_add_co_u32 v0, vcc_lo, s0, v0
	s_wait_alu 0xfffd
	v_add_co_ci_u32_e32 v1, vcc_lo, s1, v1, vcc_lo
	s_lshl_b64 s[0:1], s[4:5], 9
	s_delay_alu instid0(VALU_DEP_2) | instskip(SKIP_1) | instid1(VALU_DEP_2)
	v_add_co_u32 v0, vcc_lo, v0, v26
	s_wait_alu 0xfffd
	v_add_co_ci_u32_e32 v1, vcc_lo, v1, v27, vcc_lo
	s_wait_dscnt 0x5
	v_mul_f32_e32 v26, v37, v3
	s_wait_dscnt 0x4
	v_dual_mul_f32 v27, v37, v2 :: v_dual_mul_f32 v28, v39, v7
	s_wait_dscnt 0x3
	v_dual_mul_f32 v29, v39, v6 :: v_dual_mul_f32 v30, v41, v11
	;; [unrolled: 2-line block ×4, first 2 shown]
	v_mul_f32_e32 v35, v45, v18
	s_wait_dscnt 0x0
	v_mul_f32_e32 v37, v47, v23
	v_mul_f32_e32 v39, v47, v22
	;; [unrolled: 1-line block ×3, first 2 shown]
	v_dual_mul_f32 v43, v51, v4 :: v_dual_fmac_f32 v26, v36, v2
	v_fma_f32 v27, v36, v3, -v27
	v_mul_f32_e32 v45, v49, v9
	v_dual_mul_f32 v47, v49, v8 :: v_dual_fmac_f32 v28, v38, v6
	v_fma_f32 v29, v38, v7, -v29
	v_mul_f32_e32 v49, v55, v13
	;; [unrolled: 3-line block ×4, first 2 shown]
	v_dual_mul_f32 v59, v59, v20 :: v_dual_fmac_f32 v34, v44, v18
	v_fma_f32 v35, v44, v19, -v35
	s_delay_alu instid0(VALU_DEP_3)
	v_dual_mul_f32 v61, v57, v25 :: v_dual_fmac_f32 v60, v58, v20
	v_mul_f32_e32 v57, v57, v24
	v_fmac_f32_e32 v37, v46, v22
	v_fma_f32 v36, v46, v23, -v39
	v_fmac_f32_e32 v41, v50, v4
	v_fma_f32 v38, v50, v5, -v43
	v_cvt_f64_f32_e32 v[2:3], v26
	v_cvt_f64_f32_e32 v[4:5], v27
	v_fmac_f32_e32 v45, v48, v8
	v_fma_f32 v39, v48, v9, -v47
	v_cvt_f64_f32_e32 v[6:7], v28
	v_cvt_f64_f32_e32 v[8:9], v29
	;; [unrolled: 4-line block ×4, first 2 shown]
	v_fma_f32 v44, v58, v21, -v59
	v_cvt_f64_f32_e32 v[18:19], v34
	v_cvt_f64_f32_e32 v[20:21], v35
	v_fmac_f32_e32 v61, v56, v24
	v_fma_f32 v48, v56, v25, -v57
	v_cvt_f64_f32_e32 v[22:23], v37
	v_cvt_f64_f32_e32 v[24:25], v36
	;; [unrolled: 1-line block ×14, first 2 shown]
	s_wait_alu 0xfffe
	v_add_co_u32 v50, vcc_lo, v0, s0
	s_wait_alu 0xfffd
	v_add_co_ci_u32_e32 v51, vcc_lo, s1, v1, vcc_lo
	v_mul_f64_e32 v[2:3], s[2:3], v[2:3]
	v_mul_f64_e32 v[4:5], s[2:3], v[4:5]
	v_add_co_u32 v52, vcc_lo, v50, s0
	v_mul_f64_e32 v[6:7], s[2:3], v[6:7]
	v_mul_f64_e32 v[8:9], s[2:3], v[8:9]
	s_wait_alu 0xfffd
	v_add_co_ci_u32_e32 v53, vcc_lo, s1, v51, vcc_lo
	v_mul_f64_e32 v[10:11], s[2:3], v[10:11]
	v_mul_f64_e32 v[12:13], s[2:3], v[12:13]
	v_add_co_u32 v54, vcc_lo, v52, s0
	v_mul_f64_e32 v[14:15], s[2:3], v[14:15]
	v_mul_f64_e32 v[16:17], s[2:3], v[16:17]
	;; [unrolled: 7-line block ×3, first 2 shown]
	v_mul_f64_e32 v[26:27], s[2:3], v[26:27]
	v_mul_f64_e32 v[28:29], s[2:3], v[28:29]
	;; [unrolled: 1-line block ×12, first 2 shown]
	s_wait_alu 0xfffd
	v_add_co_ci_u32_e32 v57, vcc_lo, s1, v55, vcc_lo
	v_add_co_u32 v58, vcc_lo, v56, s0
	v_cvt_f32_f64_e32 v2, v[2:3]
	s_wait_alu 0xfffd
	s_delay_alu instid0(VALU_DEP_3) | instskip(SKIP_3) | instid1(VALU_DEP_4)
	v_add_co_ci_u32_e32 v59, vcc_lo, s1, v57, vcc_lo
	v_cvt_f32_f64_e32 v3, v[4:5]
	v_cvt_f32_f64_e32 v4, v[6:7]
	;; [unrolled: 1-line block ×3, first 2 shown]
	v_mad_co_u64_u32 v[60:61], null, 0xfffff700, s4, v[58:59]
	v_cvt_f32_f64_e32 v6, v[10:11]
	v_cvt_f32_f64_e32 v7, v[12:13]
	s_mul_i32 s2, s5, 0xfffff700
	v_cvt_f32_f64_e32 v8, v[14:15]
	v_cvt_f32_f64_e32 v9, v[16:17]
	s_wait_alu 0xfffe
	s_sub_co_i32 s2, s2, s4
	v_cvt_f32_f64_e32 v10, v[18:19]
	v_cvt_f32_f64_e32 v11, v[20:21]
	s_wait_alu 0xfffe
	v_add_nc_u32_e32 v61, s2, v61
	v_cvt_f32_f64_e32 v12, v[22:23]
	v_cvt_f32_f64_e32 v13, v[24:25]
	;; [unrolled: 1-line block ×14, first 2 shown]
	v_add_co_u32 v26, vcc_lo, v60, s0
	s_wait_alu 0xfffd
	v_add_co_ci_u32_e32 v27, vcc_lo, s1, v61, vcc_lo
	s_delay_alu instid0(VALU_DEP_2) | instskip(SKIP_1) | instid1(VALU_DEP_2)
	v_add_co_u32 v28, vcc_lo, v26, s0
	s_wait_alu 0xfffd
	v_add_co_ci_u32_e32 v29, vcc_lo, s1, v27, vcc_lo
	s_delay_alu instid0(VALU_DEP_2) | instskip(SKIP_1) | instid1(VALU_DEP_2)
	;; [unrolled: 4-line block ×4, first 2 shown]
	v_add_co_u32 v34, vcc_lo, v32, s0
	s_wait_alu 0xfffd
	v_add_co_ci_u32_e32 v35, vcc_lo, s1, v33, vcc_lo
	s_clause 0x4
	global_store_b64 v[0:1], v[2:3], off
	global_store_b64 v[50:51], v[4:5], off
	global_store_b64 v[52:53], v[6:7], off
	global_store_b64 v[54:55], v[8:9], off
	global_store_b64 v[56:57], v[10:11], off
	global_store_b64 v[58:59], v[12:13], off
	global_store_b64 v[60:61], v[14:15], off
	global_store_b64 v[26:27], v[16:17], off
	global_store_b64 v[28:29], v[18:19], off
	global_store_b64 v[30:31], v[20:21], off
	global_store_b64 v[32:33], v[22:23], off
	global_store_b64 v[34:35], v[24:25], off
.LBB0_2:
	s_nop 0
	s_sendmsg sendmsg(MSG_DEALLOC_VGPRS)
	s_endpgm
	.section	.rodata,"a",@progbits
	.p2align	6, 0x0
	.amdhsa_kernel bluestein_single_back_len384_dim1_sp_op_CI_CI
		.amdhsa_group_segment_fixed_size 12288
		.amdhsa_private_segment_fixed_size 0
		.amdhsa_kernarg_size 104
		.amdhsa_user_sgpr_count 2
		.amdhsa_user_sgpr_dispatch_ptr 0
		.amdhsa_user_sgpr_queue_ptr 0
		.amdhsa_user_sgpr_kernarg_segment_ptr 1
		.amdhsa_user_sgpr_dispatch_id 0
		.amdhsa_user_sgpr_private_segment_size 0
		.amdhsa_wavefront_size32 1
		.amdhsa_uses_dynamic_stack 0
		.amdhsa_enable_private_segment 0
		.amdhsa_system_sgpr_workgroup_id_x 1
		.amdhsa_system_sgpr_workgroup_id_y 0
		.amdhsa_system_sgpr_workgroup_id_z 0
		.amdhsa_system_sgpr_workgroup_info 0
		.amdhsa_system_vgpr_workitem_id 0
		.amdhsa_next_free_vgpr 136
		.amdhsa_next_free_sgpr 20
		.amdhsa_reserve_vcc 1
		.amdhsa_float_round_mode_32 0
		.amdhsa_float_round_mode_16_64 0
		.amdhsa_float_denorm_mode_32 3
		.amdhsa_float_denorm_mode_16_64 3
		.amdhsa_fp16_overflow 0
		.amdhsa_workgroup_processor_mode 1
		.amdhsa_memory_ordered 1
		.amdhsa_forward_progress 0
		.amdhsa_round_robin_scheduling 0
		.amdhsa_exception_fp_ieee_invalid_op 0
		.amdhsa_exception_fp_denorm_src 0
		.amdhsa_exception_fp_ieee_div_zero 0
		.amdhsa_exception_fp_ieee_overflow 0
		.amdhsa_exception_fp_ieee_underflow 0
		.amdhsa_exception_fp_ieee_inexact 0
		.amdhsa_exception_int_div_zero 0
	.end_amdhsa_kernel
	.text
.Lfunc_end0:
	.size	bluestein_single_back_len384_dim1_sp_op_CI_CI, .Lfunc_end0-bluestein_single_back_len384_dim1_sp_op_CI_CI
                                        ; -- End function
	.section	.AMDGPU.csdata,"",@progbits
; Kernel info:
; codeLenInByte = 9060
; NumSgprs: 22
; NumVgprs: 136
; ScratchSize: 0
; MemoryBound: 0
; FloatMode: 240
; IeeeMode: 1
; LDSByteSize: 12288 bytes/workgroup (compile time only)
; SGPRBlocks: 2
; VGPRBlocks: 16
; NumSGPRsForWavesPerEU: 22
; NumVGPRsForWavesPerEU: 136
; Occupancy: 10
; WaveLimiterHint : 1
; COMPUTE_PGM_RSRC2:SCRATCH_EN: 0
; COMPUTE_PGM_RSRC2:USER_SGPR: 2
; COMPUTE_PGM_RSRC2:TRAP_HANDLER: 0
; COMPUTE_PGM_RSRC2:TGID_X_EN: 1
; COMPUTE_PGM_RSRC2:TGID_Y_EN: 0
; COMPUTE_PGM_RSRC2:TGID_Z_EN: 0
; COMPUTE_PGM_RSRC2:TIDIG_COMP_CNT: 0
	.text
	.p2alignl 7, 3214868480
	.fill 96, 4, 3214868480
	.type	__hip_cuid_37773926e89d9a61,@object ; @__hip_cuid_37773926e89d9a61
	.section	.bss,"aw",@nobits
	.globl	__hip_cuid_37773926e89d9a61
__hip_cuid_37773926e89d9a61:
	.byte	0                               ; 0x0
	.size	__hip_cuid_37773926e89d9a61, 1

	.ident	"AMD clang version 19.0.0git (https://github.com/RadeonOpenCompute/llvm-project roc-6.4.0 25133 c7fe45cf4b819c5991fe208aaa96edf142730f1d)"
	.section	".note.GNU-stack","",@progbits
	.addrsig
	.addrsig_sym __hip_cuid_37773926e89d9a61
	.amdgpu_metadata
---
amdhsa.kernels:
  - .args:
      - .actual_access:  read_only
        .address_space:  global
        .offset:         0
        .size:           8
        .value_kind:     global_buffer
      - .actual_access:  read_only
        .address_space:  global
        .offset:         8
        .size:           8
        .value_kind:     global_buffer
      - .actual_access:  read_only
        .address_space:  global
        .offset:         16
        .size:           8
        .value_kind:     global_buffer
      - .actual_access:  read_only
        .address_space:  global
        .offset:         24
        .size:           8
        .value_kind:     global_buffer
      - .actual_access:  read_only
        .address_space:  global
        .offset:         32
        .size:           8
        .value_kind:     global_buffer
      - .offset:         40
        .size:           8
        .value_kind:     by_value
      - .address_space:  global
        .offset:         48
        .size:           8
        .value_kind:     global_buffer
      - .address_space:  global
        .offset:         56
        .size:           8
        .value_kind:     global_buffer
      - .address_space:  global
        .offset:         64
        .size:           8
        .value_kind:     global_buffer
      - .address_space:  global
        .offset:         72
        .size:           8
        .value_kind:     global_buffer
      - .offset:         80
        .size:           4
        .value_kind:     by_value
      - .address_space:  global
        .offset:         88
        .size:           8
        .value_kind:     global_buffer
      - .address_space:  global
        .offset:         96
        .size:           8
        .value_kind:     global_buffer
    .group_segment_fixed_size: 12288
    .kernarg_segment_align: 8
    .kernarg_segment_size: 104
    .language:       OpenCL C
    .language_version:
      - 2
      - 0
    .max_flat_workgroup_size: 128
    .name:           bluestein_single_back_len384_dim1_sp_op_CI_CI
    .private_segment_fixed_size: 0
    .sgpr_count:     22
    .sgpr_spill_count: 0
    .symbol:         bluestein_single_back_len384_dim1_sp_op_CI_CI.kd
    .uniform_work_group_size: 1
    .uses_dynamic_stack: false
    .vgpr_count:     136
    .vgpr_spill_count: 0
    .wavefront_size: 32
    .workgroup_processor_mode: 1
amdhsa.target:   amdgcn-amd-amdhsa--gfx1201
amdhsa.version:
  - 1
  - 2
...

	.end_amdgpu_metadata
